;; amdgpu-corpus repo=ROCm/rocFFT kind=compiled arch=gfx906 opt=O3
	.text
	.amdgcn_target "amdgcn-amd-amdhsa--gfx906"
	.amdhsa_code_object_version 6
	.protected	fft_rtc_back_len1350_factors_5_10_3_3_3_wgs_135_tpt_135_halfLds_sp_ip_CI_unitstride_sbrr_C2R_dirReg ; -- Begin function fft_rtc_back_len1350_factors_5_10_3_3_3_wgs_135_tpt_135_halfLds_sp_ip_CI_unitstride_sbrr_C2R_dirReg
	.globl	fft_rtc_back_len1350_factors_5_10_3_3_3_wgs_135_tpt_135_halfLds_sp_ip_CI_unitstride_sbrr_C2R_dirReg
	.p2align	8
	.type	fft_rtc_back_len1350_factors_5_10_3_3_3_wgs_135_tpt_135_halfLds_sp_ip_CI_unitstride_sbrr_C2R_dirReg,@function
fft_rtc_back_len1350_factors_5_10_3_3_3_wgs_135_tpt_135_halfLds_sp_ip_CI_unitstride_sbrr_C2R_dirReg: ; @fft_rtc_back_len1350_factors_5_10_3_3_3_wgs_135_tpt_135_halfLds_sp_ip_CI_unitstride_sbrr_C2R_dirReg
; %bb.0:
	s_load_dwordx2 s[12:13], s[4:5], 0x50
	s_load_dwordx4 s[8:11], s[4:5], 0x0
	s_load_dwordx2 s[2:3], s[4:5], 0x18
	v_mul_u32_u24_e32 v1, 0x1e6, v0
	v_add_u32_sdwa v5, s6, v1 dst_sel:DWORD dst_unused:UNUSED_PAD src0_sel:DWORD src1_sel:WORD_1
	v_mov_b32_e32 v3, 0
	s_waitcnt lgkmcnt(0)
	v_cmp_lt_u64_e64 s[0:1], s[10:11], 2
	v_mov_b32_e32 v1, 0
	v_mov_b32_e32 v6, v3
	s_and_b64 vcc, exec, s[0:1]
	v_mov_b32_e32 v2, 0
	s_cbranch_vccnz .LBB0_8
; %bb.1:
	s_load_dwordx2 s[0:1], s[4:5], 0x10
	s_add_u32 s6, s2, 8
	s_addc_u32 s7, s3, 0
	v_mov_b32_e32 v1, 0
	v_mov_b32_e32 v2, 0
	s_waitcnt lgkmcnt(0)
	s_add_u32 s14, s0, 8
	s_addc_u32 s15, s1, 0
	s_mov_b64 s[16:17], 1
.LBB0_2:                                ; =>This Inner Loop Header: Depth=1
	s_load_dwordx2 s[18:19], s[14:15], 0x0
                                        ; implicit-def: $vgpr7_vgpr8
	s_waitcnt lgkmcnt(0)
	v_or_b32_e32 v4, s19, v6
	v_cmp_ne_u64_e32 vcc, 0, v[3:4]
	s_and_saveexec_b64 s[0:1], vcc
	s_xor_b64 s[20:21], exec, s[0:1]
	s_cbranch_execz .LBB0_4
; %bb.3:                                ;   in Loop: Header=BB0_2 Depth=1
	v_cvt_f32_u32_e32 v4, s18
	v_cvt_f32_u32_e32 v7, s19
	s_sub_u32 s0, 0, s18
	s_subb_u32 s1, 0, s19
	v_mac_f32_e32 v4, 0x4f800000, v7
	v_rcp_f32_e32 v4, v4
	v_mul_f32_e32 v4, 0x5f7ffffc, v4
	v_mul_f32_e32 v7, 0x2f800000, v4
	v_trunc_f32_e32 v7, v7
	v_mac_f32_e32 v4, 0xcf800000, v7
	v_cvt_u32_f32_e32 v7, v7
	v_cvt_u32_f32_e32 v4, v4
	v_mul_lo_u32 v8, s0, v7
	v_mul_hi_u32 v9, s0, v4
	v_mul_lo_u32 v11, s1, v4
	v_mul_lo_u32 v10, s0, v4
	v_add_u32_e32 v8, v9, v8
	v_add_u32_e32 v8, v8, v11
	v_mul_hi_u32 v9, v4, v10
	v_mul_lo_u32 v11, v4, v8
	v_mul_hi_u32 v13, v4, v8
	v_mul_hi_u32 v12, v7, v10
	v_mul_lo_u32 v10, v7, v10
	v_mul_hi_u32 v14, v7, v8
	v_add_co_u32_e32 v9, vcc, v9, v11
	v_addc_co_u32_e32 v11, vcc, 0, v13, vcc
	v_mul_lo_u32 v8, v7, v8
	v_add_co_u32_e32 v9, vcc, v9, v10
	v_addc_co_u32_e32 v9, vcc, v11, v12, vcc
	v_addc_co_u32_e32 v10, vcc, 0, v14, vcc
	v_add_co_u32_e32 v8, vcc, v9, v8
	v_addc_co_u32_e32 v9, vcc, 0, v10, vcc
	v_add_co_u32_e32 v4, vcc, v4, v8
	v_addc_co_u32_e32 v7, vcc, v7, v9, vcc
	v_mul_lo_u32 v8, s0, v7
	v_mul_hi_u32 v9, s0, v4
	v_mul_lo_u32 v10, s1, v4
	v_mul_lo_u32 v11, s0, v4
	v_add_u32_e32 v8, v9, v8
	v_add_u32_e32 v8, v8, v10
	v_mul_lo_u32 v12, v4, v8
	v_mul_hi_u32 v13, v4, v11
	v_mul_hi_u32 v14, v4, v8
	;; [unrolled: 1-line block ×3, first 2 shown]
	v_mul_lo_u32 v11, v7, v11
	v_mul_hi_u32 v9, v7, v8
	v_add_co_u32_e32 v12, vcc, v13, v12
	v_addc_co_u32_e32 v13, vcc, 0, v14, vcc
	v_mul_lo_u32 v8, v7, v8
	v_add_co_u32_e32 v11, vcc, v12, v11
	v_addc_co_u32_e32 v10, vcc, v13, v10, vcc
	v_addc_co_u32_e32 v9, vcc, 0, v9, vcc
	v_add_co_u32_e32 v8, vcc, v10, v8
	v_addc_co_u32_e32 v9, vcc, 0, v9, vcc
	v_add_co_u32_e32 v4, vcc, v4, v8
	v_addc_co_u32_e32 v9, vcc, v7, v9, vcc
	v_mad_u64_u32 v[7:8], s[0:1], v5, v9, 0
	v_mul_hi_u32 v10, v5, v4
	v_add_co_u32_e32 v11, vcc, v10, v7
	v_addc_co_u32_e32 v12, vcc, 0, v8, vcc
	v_mad_u64_u32 v[7:8], s[0:1], v6, v4, 0
	v_mad_u64_u32 v[9:10], s[0:1], v6, v9, 0
	v_add_co_u32_e32 v4, vcc, v11, v7
	v_addc_co_u32_e32 v4, vcc, v12, v8, vcc
	v_addc_co_u32_e32 v7, vcc, 0, v10, vcc
	v_add_co_u32_e32 v4, vcc, v4, v9
	v_addc_co_u32_e32 v9, vcc, 0, v7, vcc
	v_mul_lo_u32 v10, s19, v4
	v_mul_lo_u32 v11, s18, v9
	v_mad_u64_u32 v[7:8], s[0:1], s18, v4, 0
	v_add3_u32 v8, v8, v11, v10
	v_sub_u32_e32 v10, v6, v8
	v_mov_b32_e32 v11, s19
	v_sub_co_u32_e32 v7, vcc, v5, v7
	v_subb_co_u32_e64 v10, s[0:1], v10, v11, vcc
	v_subrev_co_u32_e64 v11, s[0:1], s18, v7
	v_subbrev_co_u32_e64 v10, s[0:1], 0, v10, s[0:1]
	v_cmp_le_u32_e64 s[0:1], s19, v10
	v_cndmask_b32_e64 v12, 0, -1, s[0:1]
	v_cmp_le_u32_e64 s[0:1], s18, v11
	v_cndmask_b32_e64 v11, 0, -1, s[0:1]
	v_cmp_eq_u32_e64 s[0:1], s19, v10
	v_cndmask_b32_e64 v10, v12, v11, s[0:1]
	v_add_co_u32_e64 v11, s[0:1], 2, v4
	v_addc_co_u32_e64 v12, s[0:1], 0, v9, s[0:1]
	v_add_co_u32_e64 v13, s[0:1], 1, v4
	v_addc_co_u32_e64 v14, s[0:1], 0, v9, s[0:1]
	v_subb_co_u32_e32 v8, vcc, v6, v8, vcc
	v_cmp_ne_u32_e64 s[0:1], 0, v10
	v_cmp_le_u32_e32 vcc, s19, v8
	v_cndmask_b32_e64 v10, v14, v12, s[0:1]
	v_cndmask_b32_e64 v12, 0, -1, vcc
	v_cmp_le_u32_e32 vcc, s18, v7
	v_cndmask_b32_e64 v7, 0, -1, vcc
	v_cmp_eq_u32_e32 vcc, s19, v8
	v_cndmask_b32_e32 v7, v12, v7, vcc
	v_cmp_ne_u32_e32 vcc, 0, v7
	v_cndmask_b32_e64 v7, v13, v11, s[0:1]
	v_cndmask_b32_e32 v8, v9, v10, vcc
	v_cndmask_b32_e32 v7, v4, v7, vcc
.LBB0_4:                                ;   in Loop: Header=BB0_2 Depth=1
	s_andn2_saveexec_b64 s[0:1], s[20:21]
	s_cbranch_execz .LBB0_6
; %bb.5:                                ;   in Loop: Header=BB0_2 Depth=1
	v_cvt_f32_u32_e32 v4, s18
	s_sub_i32 s20, 0, s18
	v_rcp_iflag_f32_e32 v4, v4
	v_mul_f32_e32 v4, 0x4f7ffffe, v4
	v_cvt_u32_f32_e32 v4, v4
	v_mul_lo_u32 v7, s20, v4
	v_mul_hi_u32 v7, v4, v7
	v_add_u32_e32 v4, v4, v7
	v_mul_hi_u32 v4, v5, v4
	v_mul_lo_u32 v7, v4, s18
	v_add_u32_e32 v8, 1, v4
	v_sub_u32_e32 v7, v5, v7
	v_subrev_u32_e32 v9, s18, v7
	v_cmp_le_u32_e32 vcc, s18, v7
	v_cndmask_b32_e32 v7, v7, v9, vcc
	v_cndmask_b32_e32 v4, v4, v8, vcc
	v_add_u32_e32 v8, 1, v4
	v_cmp_le_u32_e32 vcc, s18, v7
	v_cndmask_b32_e32 v7, v4, v8, vcc
	v_mov_b32_e32 v8, v3
.LBB0_6:                                ;   in Loop: Header=BB0_2 Depth=1
	s_or_b64 exec, exec, s[0:1]
	v_mul_lo_u32 v4, v8, s18
	v_mul_lo_u32 v11, v7, s19
	v_mad_u64_u32 v[9:10], s[0:1], v7, s18, 0
	s_load_dwordx2 s[0:1], s[6:7], 0x0
	s_add_u32 s16, s16, 1
	v_add3_u32 v4, v10, v11, v4
	v_sub_co_u32_e32 v5, vcc, v5, v9
	v_subb_co_u32_e32 v4, vcc, v6, v4, vcc
	s_waitcnt lgkmcnt(0)
	v_mul_lo_u32 v4, s0, v4
	v_mul_lo_u32 v6, s1, v5
	v_mad_u64_u32 v[1:2], s[0:1], s0, v5, v[1:2]
	s_addc_u32 s17, s17, 0
	s_add_u32 s6, s6, 8
	v_add3_u32 v2, v6, v2, v4
	v_mov_b32_e32 v4, s10
	v_mov_b32_e32 v5, s11
	s_addc_u32 s7, s7, 0
	v_cmp_ge_u64_e32 vcc, s[16:17], v[4:5]
	s_add_u32 s14, s14, 8
	s_addc_u32 s15, s15, 0
	s_cbranch_vccnz .LBB0_9
; %bb.7:                                ;   in Loop: Header=BB0_2 Depth=1
	v_mov_b32_e32 v5, v7
	v_mov_b32_e32 v6, v8
	s_branch .LBB0_2
.LBB0_8:
	v_mov_b32_e32 v8, v6
	v_mov_b32_e32 v7, v5
.LBB0_9:
	s_lshl_b64 s[0:1], s[10:11], 3
	s_add_u32 s0, s2, s0
	s_addc_u32 s1, s3, s1
	s_load_dwordx2 s[2:3], s[0:1], 0x0
	s_load_dwordx2 s[6:7], s[4:5], 0x20
	s_waitcnt lgkmcnt(0)
	v_mad_u64_u32 v[1:2], s[0:1], s2, v7, v[1:2]
	v_mul_lo_u32 v3, s2, v8
	v_mul_lo_u32 v4, s3, v7
	s_mov_b32 s0, 0x1e573ad
	v_mul_hi_u32 v5, v0, s0
	v_cmp_gt_u64_e64 s[0:1], s[6:7], v[7:8]
	v_add3_u32 v2, v4, v2, v3
	v_lshlrev_b64 v[18:19], 3, v[1:2]
	v_mul_u32_u24_e32 v3, 0x87, v5
	v_sub_u32_e32 v16, v0, v3
	s_and_saveexec_b64 s[2:3], s[0:1]
	s_cbranch_execz .LBB0_13
; %bb.10:
	v_mov_b32_e32 v17, 0
	v_mov_b32_e32 v0, s13
	v_add_co_u32_e32 v1, vcc, s12, v18
	v_lshlrev_b64 v[2:3], 3, v[16:17]
	v_addc_co_u32_e32 v0, vcc, v0, v19, vcc
	v_add_co_u32_e32 v2, vcc, v1, v2
	v_addc_co_u32_e32 v3, vcc, v0, v3, vcc
	s_movk_i32 s4, 0x1000
	v_add_co_u32_e32 v6, vcc, s4, v2
	v_addc_co_u32_e32 v7, vcc, 0, v3, vcc
	global_load_dwordx2 v[4:5], v[2:3], off offset:3240
	global_load_dwordx2 v[8:9], v[6:7], off offset:224
	;; [unrolled: 1-line block ×5, first 2 shown]
	global_load_dwordx2 v[20:21], v[2:3], off
	global_load_dwordx2 v[22:23], v[2:3], off offset:2160
	global_load_dwordx2 v[24:25], v[2:3], off offset:1080
	v_add_co_u32_e32 v2, vcc, 0x2000, v2
	v_addc_co_u32_e32 v3, vcc, 0, v3, vcc
	global_load_dwordx2 v[6:7], v[2:3], off offset:448
	global_load_dwordx2 v[26:27], v[2:3], off offset:1528
	v_lshl_add_u32 v2, v16, 3, 0
	s_movk_i32 s4, 0x86
	v_add_u32_e32 v3, 0x800, v2
	v_cmp_eq_u32_e32 vcc, s4, v16
	v_add_u32_e32 v28, 0x1000, v2
	v_add_u32_e32 v29, 0x1800, v2
	;; [unrolled: 1-line block ×3, first 2 shown]
	s_waitcnt vmcnt(3)
	ds_write2_b64 v3, v[22:23], v[4:5] offset0:14 offset1:149
	s_waitcnt vmcnt(2)
	ds_write2_b64 v2, v[20:21], v[24:25] offset1:135
	ds_write2_b64 v28, v[8:9], v[10:11] offset0:28 offset1:163
	ds_write2_b64 v29, v[12:13], v[14:15] offset0:42 offset1:177
	s_waitcnt vmcnt(0)
	ds_write2_b64 v30, v[6:7], v[26:27] offset0:56 offset1:191
	s_and_saveexec_b64 s[4:5], vcc
	s_cbranch_execz .LBB0_12
; %bb.11:
	v_add_co_u32_e32 v1, vcc, 0x2000, v1
	v_addc_co_u32_e32 v2, vcc, 0, v0, vcc
	global_load_dwordx2 v[0:1], v[1:2], off offset:2608
	v_mov_b32_e32 v16, 0x86
	s_waitcnt vmcnt(0)
	ds_write_b64 v17, v[0:1] offset:10800
.LBB0_12:
	s_or_b64 exec, exec, s[4:5]
.LBB0_13:
	s_or_b64 exec, exec, s[2:3]
	v_lshlrev_b32_e32 v0, 3, v16
	v_add_u32_e32 v30, 0, v0
	s_waitcnt lgkmcnt(0)
	s_barrier
	v_sub_u32_e32 v5, 0, v0
	ds_read_b32 v4, v30
	ds_read_b32 v6, v5 offset:10800
	s_add_u32 s4, s8, 0x2a08
	s_addc_u32 s5, s9, 0
	v_cmp_ne_u32_e32 vcc, 0, v16
                                        ; implicit-def: $vgpr2_vgpr3
	s_waitcnt lgkmcnt(0)
	v_add_f32_e32 v0, v6, v4
	v_sub_f32_e32 v1, v4, v6
	s_and_saveexec_b64 s[2:3], vcc
	s_xor_b64 s[2:3], exec, s[2:3]
	s_cbranch_execz .LBB0_15
; %bb.14:
	v_mov_b32_e32 v17, 0
	v_lshlrev_b64 v[0:1], 3, v[16:17]
	v_mov_b32_e32 v2, s5
	v_add_co_u32_e32 v0, vcc, s4, v0
	v_addc_co_u32_e32 v1, vcc, v2, v1, vcc
	global_load_dwordx2 v[2:3], v[0:1], off
	ds_read_b32 v0, v5 offset:10804
	ds_read_b32 v1, v30 offset:4
	v_add_f32_e32 v7, v6, v4
	v_sub_f32_e32 v4, v4, v6
	s_waitcnt lgkmcnt(0)
	v_add_f32_e32 v8, v0, v1
	v_sub_f32_e32 v0, v1, v0
	s_waitcnt vmcnt(0)
	v_fma_f32 v9, v4, v3, v7
	v_fma_f32 v1, v8, v3, v0
	v_fma_f32 v6, -v4, v3, v7
	v_fma_f32 v7, v8, v3, -v0
	v_fma_f32 v0, -v2, v8, v9
	v_fmac_f32_e32 v1, v4, v2
	v_fmac_f32_e32 v6, v2, v8
	;; [unrolled: 1-line block ×3, first 2 shown]
	v_mov_b32_e32 v2, v16
	ds_write_b64 v5, v[6:7] offset:10800
	v_mov_b32_e32 v3, v17
.LBB0_15:
	s_andn2_saveexec_b64 s[2:3], s[2:3]
	s_cbranch_execz .LBB0_17
; %bb.16:
	v_mov_b32_e32 v4, 0
	ds_read_b64 v[2:3], v4 offset:5400
	s_waitcnt lgkmcnt(0)
	v_add_f32_e32 v6, v2, v2
	v_mul_f32_e32 v7, -2.0, v3
	v_mov_b32_e32 v2, 0
	v_mov_b32_e32 v3, 0
	ds_write_b64 v4, v[6:7] offset:5400
.LBB0_17:
	s_or_b64 exec, exec, s[2:3]
	v_lshlrev_b64 v[2:3], 3, v[2:3]
	v_mov_b32_e32 v4, s5
	v_add_co_u32_e32 v2, vcc, s4, v2
	v_addc_co_u32_e32 v3, vcc, v4, v3, vcc
	global_load_dwordx2 v[6:7], v[2:3], off offset:1080
	global_load_dwordx2 v[8:9], v[2:3], off offset:2160
	global_load_dwordx2 v[10:11], v[2:3], off offset:3240
	s_movk_i32 s2, 0x1000
	v_add_co_u32_e32 v2, vcc, s2, v2
	v_addc_co_u32_e32 v3, vcc, 0, v3, vcc
	global_load_dwordx2 v[2:3], v[2:3], off offset:224
	ds_write_b64 v30, v[0:1]
	ds_read_b64 v[0:1], v30 offset:1080
	ds_read_b64 v[12:13], v5 offset:9720
	s_movk_i32 s2, 0xcd
	v_cmp_gt_u32_e32 vcc, 45, v16
	s_waitcnt lgkmcnt(0)
	v_add_f32_e32 v4, v0, v12
	v_add_f32_e32 v14, v13, v1
	v_sub_f32_e32 v15, v0, v12
	v_sub_f32_e32 v0, v1, v13
	s_waitcnt vmcnt(3)
	v_fma_f32 v17, v15, v7, v4
	v_fma_f32 v1, v14, v7, v0
	v_fma_f32 v12, -v15, v7, v4
	v_fma_f32 v13, v14, v7, -v0
	v_fma_f32 v0, -v6, v14, v17
	v_fmac_f32_e32 v1, v15, v6
	v_fmac_f32_e32 v12, v6, v14
	;; [unrolled: 1-line block ×3, first 2 shown]
	ds_write_b64 v30, v[0:1] offset:1080
	ds_write_b64 v5, v[12:13] offset:9720
	ds_read_b64 v[0:1], v30 offset:2160
	ds_read_b64 v[6:7], v5 offset:8640
	v_add_u32_e32 v15, 0x1800, v30
	s_waitcnt lgkmcnt(0)
	v_add_f32_e32 v4, v0, v6
	v_add_f32_e32 v12, v7, v1
	v_sub_f32_e32 v13, v0, v6
	v_sub_f32_e32 v0, v1, v7
	s_waitcnt vmcnt(2)
	v_fma_f32 v14, v13, v9, v4
	v_fma_f32 v1, v12, v9, v0
	v_fma_f32 v6, -v13, v9, v4
	v_fma_f32 v7, v12, v9, -v0
	v_fma_f32 v0, -v8, v12, v14
	v_fmac_f32_e32 v1, v13, v8
	v_fmac_f32_e32 v6, v8, v12
	;; [unrolled: 1-line block ×3, first 2 shown]
	ds_write_b64 v30, v[0:1] offset:2160
	ds_write_b64 v5, v[6:7] offset:8640
	ds_read_b64 v[0:1], v30 offset:3240
	ds_read_b64 v[6:7], v5 offset:7560
	s_waitcnt lgkmcnt(0)
	v_add_f32_e32 v4, v0, v6
	v_add_f32_e32 v8, v7, v1
	v_sub_f32_e32 v9, v0, v6
	v_sub_f32_e32 v0, v1, v7
	s_waitcnt vmcnt(1)
	v_fma_f32 v12, v9, v11, v4
	v_fma_f32 v1, v8, v11, v0
	v_fma_f32 v6, -v9, v11, v4
	v_fma_f32 v7, v8, v11, -v0
	v_fma_f32 v0, -v10, v8, v12
	v_fmac_f32_e32 v1, v9, v10
	v_fmac_f32_e32 v6, v10, v8
	;; [unrolled: 1-line block ×3, first 2 shown]
	ds_write_b64 v30, v[0:1] offset:3240
	ds_write_b64 v5, v[6:7] offset:7560
	ds_read_b64 v[6:7], v30 offset:4320
	ds_read_b64 v[8:9], v5 offset:6480
	v_add_u32_e32 v0, 0x800, v30
	v_add_u32_e32 v4, 0x1000, v30
	s_waitcnt lgkmcnt(0)
	v_add_f32_e32 v1, v6, v8
	v_add_f32_e32 v10, v9, v7
	v_sub_f32_e32 v11, v6, v8
	v_sub_f32_e32 v6, v7, v9
	s_waitcnt vmcnt(0)
	v_fma_f32 v12, v11, v3, v1
	v_fma_f32 v7, v10, v3, v6
	v_fma_f32 v8, -v11, v3, v1
	v_fma_f32 v9, v10, v3, -v6
	v_fma_f32 v6, -v2, v10, v12
	v_fmac_f32_e32 v7, v11, v2
	v_fmac_f32_e32 v8, v2, v10
	;; [unrolled: 1-line block ×3, first 2 shown]
	ds_write_b64 v30, v[6:7] offset:4320
	ds_write_b64 v5, v[8:9] offset:6480
	s_waitcnt lgkmcnt(0)
	s_barrier
	s_barrier
	ds_read2_b64 v[5:8], v30 offset1:135
	ds_read2_b64 v[9:12], v0 offset0:14 offset1:149
	v_add_u32_e32 v3, 0x2000, v30
	ds_read2_b64 v[20:23], v4 offset0:28 offset1:163
	ds_read2_b64 v[24:27], v15 offset0:42 offset1:177
	;; [unrolled: 1-line block ×3, first 2 shown]
	s_waitcnt lgkmcnt(0)
	s_barrier
	v_add_f32_e32 v1, v5, v9
	v_add_f32_e32 v2, v6, v10
	;; [unrolled: 1-line block ×6, first 2 shown]
	v_sub_f32_e32 v42, v11, v22
	v_sub_f32_e32 v43, v22, v11
	v_add_f32_e32 v44, v23, v27
	v_add_f32_e32 v2, v2, v21
	;; [unrolled: 1-line block ×4, first 2 shown]
	v_sub_f32_e32 v50, v11, v33
	v_add_f32_e32 v1, v1, v24
	v_sub_f32_e32 v11, v33, v26
	v_add_f32_e32 v17, v20, v24
	v_sub_f32_e32 v28, v21, v25
	v_sub_f32_e32 v29, v9, v20
	;; [unrolled: 1-line block ×3, first 2 shown]
	v_add_f32_e32 v36, v21, v25
	v_sub_f32_e32 v37, v20, v24
	v_sub_f32_e32 v38, v10, v21
	;; [unrolled: 1-line block ×6, first 2 shown]
	v_add_f32_e32 v14, v14, v23
	v_add_f32_e32 v21, v9, v31
	v_sub_f32_e32 v22, v9, v31
	v_sub_f32_e32 v48, v12, v34
	v_add_f32_e32 v51, v12, v34
	v_add_f32_e32 v2, v2, v25
	;; [unrolled: 1-line block ×3, first 2 shown]
	v_sub_f32_e32 v52, v31, v24
	v_sub_f32_e32 v24, v24, v31
	;; [unrolled: 1-line block ×3, first 2 shown]
	v_add_f32_e32 v1, v1, v31
	v_add_f32_e32 v31, v42, v11
	v_fma_f32 v11, -0.5, v40, v7
	v_fma_f32 v12, -0.5, v44, v8
	v_sub_f32_e32 v41, v23, v27
	v_sub_f32_e32 v20, v10, v32
	v_add_f32_e32 v23, v10, v32
	v_add_f32_e32 v10, v14, v27
	v_sub_f32_e32 v53, v32, v25
	v_sub_f32_e32 v25, v25, v32
	v_add_f32_e32 v2, v2, v32
	v_add_f32_e32 v32, v46, v13
	v_mov_b32_e32 v13, v11
	v_mov_b32_e32 v14, v12
	v_fmac_f32_e32 v13, 0xbf737871, v48
	v_fmac_f32_e32 v14, 0x3f737871, v50
	v_sub_f32_e32 v26, v26, v33
	v_add_f32_e32 v9, v9, v33
	v_fmac_f32_e32 v13, 0xbf167918, v41
	v_fmac_f32_e32 v14, 0x3f167918, v45
	v_lshl_add_u32 v33, v16, 5, v30
	v_sub_f32_e32 v27, v27, v34
	v_add_f32_e32 v10, v10, v34
	v_fmac_f32_e32 v13, 0x3e9e377a, v31
	v_fmac_f32_e32 v14, 0x3e9e377a, v32
	v_add_u32_e32 v34, 0x1518, v33
	ds_write2_b64 v34, v[9:10], v[13:14] offset1:1
	v_fma_f32 v9, -0.5, v17, v5
	v_fma_f32 v10, -0.5, v36, v6
	v_mov_b32_e32 v13, v9
	v_mov_b32_e32 v14, v10
	v_fmac_f32_e32 v13, 0xbf737871, v20
	v_fmac_f32_e32 v14, 0x3f737871, v22
	v_add_f32_e32 v29, v29, v52
	v_add_f32_e32 v17, v38, v53
	v_fmac_f32_e32 v13, 0xbf167918, v28
	v_fmac_f32_e32 v14, 0x3f167918, v37
	;; [unrolled: 1-line block ×4, first 2 shown]
	ds_write2_b64 v33, v[1:2], v[13:14] offset1:1
	v_fma_f32 v1, -0.5, v21, v5
	v_mov_b32_e32 v5, v1
	v_fmac_f32_e32 v5, 0x3f737871, v28
	v_fmac_f32_e32 v1, 0xbf737871, v28
	v_add_f32_e32 v2, v35, v24
	v_fmac_f32_e32 v5, 0xbf167918, v20
	v_fmac_f32_e32 v1, 0x3f167918, v20
	;; [unrolled: 1-line block ×4, first 2 shown]
	v_fma_f32 v2, -0.5, v23, v6
	v_mov_b32_e32 v6, v2
	v_fmac_f32_e32 v6, 0xbf737871, v37
	v_fmac_f32_e32 v2, 0x3f737871, v37
	v_add_f32_e32 v13, v39, v25
	v_fmac_f32_e32 v6, 0x3f167918, v22
	v_fmac_f32_e32 v2, 0xbf167918, v22
	;; [unrolled: 1-line block ×4, first 2 shown]
	v_fma_f32 v7, -0.5, v49, v7
	ds_write2_b64 v33, v[5:6], v[1:2] offset0:2 offset1:3
	v_mov_b32_e32 v1, v7
	v_fmac_f32_e32 v1, 0x3f737871, v41
	v_fmac_f32_e32 v7, 0xbf737871, v41
	v_add_f32_e32 v2, v43, v26
	v_fmac_f32_e32 v1, 0xbf167918, v48
	v_fmac_f32_e32 v7, 0x3f167918, v48
	v_fmac_f32_e32 v8, -0.5, v51
	v_fmac_f32_e32 v1, 0x3e9e377a, v2
	v_fmac_f32_e32 v7, 0x3e9e377a, v2
	v_mov_b32_e32 v2, v8
	v_fmac_f32_e32 v9, 0x3f737871, v20
	v_fmac_f32_e32 v10, 0xbf737871, v22
	;; [unrolled: 1-line block ×8, first 2 shown]
	v_add_f32_e32 v5, v47, v27
	v_fmac_f32_e32 v2, 0x3f167918, v50
	v_fmac_f32_e32 v8, 0xbf167918, v50
	;; [unrolled: 1-line block ×8, first 2 shown]
	v_add_u32_e32 v5, 0x1528, v33
	v_fmac_f32_e32 v11, 0x3e9e377a, v31
	v_fmac_f32_e32 v12, 0x3e9e377a, v32
	ds_write_b64 v33, v[9:10] offset:32
	ds_write2_b64 v5, v[1:2], v[7:8] offset1:1
	ds_write_b64 v33, v[11:12] offset:5432
	v_mul_lo_u16_sdwa v1, v16, s2 dst_sel:DWORD dst_unused:UNUSED_PAD src0_sel:BYTE_0 src1_sel:DWORD
	v_lshrrev_b16_e32 v13, 10, v1
	v_mul_lo_u16_e32 v1, 5, v13
	v_sub_u16_e32 v14, v16, v1
	v_mov_b32_e32 v1, 9
	v_mul_u32_u24_sdwa v1, v14, v1 dst_sel:DWORD dst_unused:UNUSED_PAD src0_sel:BYTE_0 src1_sel:DWORD
	v_lshlrev_b32_e32 v17, 3, v1
	s_waitcnt lgkmcnt(0)
	s_barrier
	global_load_dwordx2 v[1:2], v17, s[8:9] offset:64
	global_load_dwordx4 v[5:8], v17, s[8:9] offset:48
	global_load_dwordx4 v[9:12], v17, s[8:9] offset:32
	;; [unrolled: 1-line block ×3, first 2 shown]
	global_load_dwordx4 v[24:27], v17, s[8:9]
	ds_read2_b64 v[31:34], v3 offset0:56 offset1:191
	v_mov_b32_e32 v28, 3
	s_waitcnt vmcnt(4) lgkmcnt(0)
	v_mul_f32_e32 v3, v34, v2
	v_mul_f32_e32 v2, v33, v2
	v_fmac_f32_e32 v3, v33, v1
	v_fma_f32 v17, v34, v1, -v2
	ds_read2_b64 v[33:36], v15 offset0:42 offset1:177
	s_waitcnt vmcnt(3)
	v_mul_f32_e32 v15, v32, v8
	v_mul_f32_e32 v1, v31, v8
	v_fmac_f32_e32 v15, v31, v7
	v_fma_f32 v29, v32, v7, -v1
	s_waitcnt lgkmcnt(0)
	v_mul_f32_e32 v31, v36, v6
	v_mul_f32_e32 v1, v35, v6
	v_fmac_f32_e32 v31, v35, v5
	v_fma_f32 v32, v36, v5, -v1
	ds_read2_b64 v[5:8], v4 offset0:28 offset1:163
	s_waitcnt vmcnt(2)
	v_mul_f32_e32 v35, v34, v12
	v_mul_f32_e32 v1, v33, v12
	v_fmac_f32_e32 v35, v33, v11
	v_fma_f32 v33, v34, v11, -v1
	s_waitcnt lgkmcnt(0)
	;; [unrolled: 11-line block ×3, first 2 shown]
	v_mul_f32_e32 v23, v21, v10
	v_mul_f32_e32 v1, v21, v9
	v_fmac_f32_e32 v23, v20, v9
	v_fma_f32 v20, v20, v10, -v1
	ds_read2_b64 v[9:12], v30 offset1:135
	s_waitcnt vmcnt(0)
	v_mul_f32_e32 v21, v27, v8
	v_fmac_f32_e32 v21, v26, v7
	v_mul_f32_e32 v1, v27, v7
	v_fma_f32 v7, v26, v8, -v1
	v_sub_f32_e32 v5, v21, v37
	v_sub_f32_e32 v6, v15, v35
	v_add_f32_e32 v27, v5, v6
	v_sub_f32_e32 v5, v7, v22
	v_sub_f32_e32 v6, v29, v33
	s_waitcnt lgkmcnt(0)
	v_mul_f32_e32 v8, v25, v12
	v_mul_f32_e32 v1, v25, v11
	v_add_f32_e32 v38, v5, v6
	v_sub_f32_e32 v5, v23, v34
	v_sub_f32_e32 v6, v3, v31
	v_fmac_f32_e32 v8, v24, v11
	v_fma_f32 v11, v24, v12, -v1
	v_add_f32_e32 v1, v37, v35
	v_add_f32_e32 v39, v5, v6
	v_sub_f32_e32 v5, v20, v36
	v_sub_f32_e32 v6, v17, v32
	v_fma_f32 v24, -0.5, v1, v9
	v_add_f32_e32 v1, v21, v15
	v_add_f32_e32 v40, v5, v6
	;; [unrolled: 1-line block ×3, first 2 shown]
	v_fma_f32 v12, -0.5, v1, v9
	v_add_f32_e32 v1, v22, v33
	v_fma_f32 v44, -0.5, v6, v11
	v_fma_f32 v25, -0.5, v1, v10
	v_add_f32_e32 v1, v7, v29
	v_sub_f32_e32 v45, v23, v3
	v_mov_b32_e32 v6, v44
	v_fma_f32 v26, -0.5, v1, v10
	v_add_f32_e32 v1, v9, v21
	v_fmac_f32_e32 v6, 0x3f737871, v45
	v_sub_f32_e32 v46, v34, v31
	v_fmac_f32_e32 v6, 0x3f167918, v46
	v_add_f32_e32 v1, v1, v37
	v_add_f32_e32 v2, v10, v7
	v_fmac_f32_e32 v6, 0x3e9e377a, v40
	v_add_f32_e32 v1, v1, v35
	v_mul_f32_e32 v9, 0xbf167918, v6
	v_mul_f32_e32 v10, 0x3f4f1bbd, v6
	v_lshlrev_b32_sdwa v6, v28, v14 dst_sel:DWORD dst_unused:UNUSED_PAD src0_sel:DWORD src1_sel:BYTE_0
	v_add_f32_e32 v14, v1, v15
	v_add_f32_e32 v1, v2, v22
	;; [unrolled: 1-line block ×6, first 2 shown]
	v_fma_f32 v41, -0.5, v5, v8
	v_add_f32_e32 v1, v1, v34
	v_sub_f32_e32 v42, v20, v17
	v_mov_b32_e32 v5, v41
	v_add_f32_e32 v1, v1, v31
	v_fmac_f32_e32 v5, 0xbf737871, v42
	v_sub_f32_e32 v43, v36, v32
	v_sub_f32_e32 v47, v7, v29
	v_mov_b32_e32 v48, v24
	v_sub_f32_e32 v51, v21, v15
	v_mov_b32_e32 v52, v25
	v_add_f32_e32 v54, v1, v3
	v_add_f32_e32 v1, v11, v20
	v_fmac_f32_e32 v5, 0xbf167918, v43
	v_fmac_f32_e32 v48, 0xbf737871, v47
	v_sub_f32_e32 v49, v22, v33
	v_fmac_f32_e32 v52, 0x3f737871, v51
	v_sub_f32_e32 v53, v37, v35
	v_add_f32_e32 v1, v1, v36
	v_fmac_f32_e32 v5, 0x3e9e377a, v39
	v_fmac_f32_e32 v48, 0xbf167918, v49
	;; [unrolled: 1-line block ×3, first 2 shown]
	v_add_f32_e32 v1, v1, v32
	v_fmac_f32_e32 v9, 0x3f4f1bbd, v5
	v_fmac_f32_e32 v10, 0x3f167918, v5
	v_mul_u32_u24_e32 v5, 0x190, v13
	v_fmac_f32_e32 v48, 0x3e9e377a, v27
	v_fmac_f32_e32 v52, 0x3e9e377a, v38
	v_add_f32_e32 v55, v1, v17
	v_add3_u32 v13, 0, v5, v6
	v_add_f32_e32 v1, v14, v54
	v_add_f32_e32 v2, v50, v55
	;; [unrolled: 1-line block ×4, first 2 shown]
	s_barrier
	ds_write2_b64 v13, v[1:2], v[5:6] offset1:5
	v_sub_f32_e32 v2, v35, v15
	v_mov_b32_e32 v15, v12
	v_sub_f32_e32 v1, v37, v21
	v_fmac_f32_e32 v15, 0x3f737871, v49
	v_fmac_f32_e32 v12, 0xbf737871, v49
	v_add_f32_e32 v1, v1, v2
	v_fmac_f32_e32 v15, 0xbf167918, v47
	v_fmac_f32_e32 v12, 0x3f167918, v47
	v_mov_b32_e32 v21, v26
	v_fmac_f32_e32 v15, 0x3e9e377a, v1
	v_fmac_f32_e32 v12, 0x3e9e377a, v1
	v_sub_f32_e32 v1, v22, v7
	v_sub_f32_e32 v2, v33, v29
	v_fmac_f32_e32 v21, 0xbf737871, v53
	v_fmac_f32_e32 v26, 0x3f737871, v53
	v_add_f32_e32 v1, v1, v2
	v_fmac_f32_e32 v21, 0x3f167918, v51
	v_fmac_f32_e32 v26, 0xbf167918, v51
	;; [unrolled: 1-line block ×4, first 2 shown]
	v_add_f32_e32 v1, v23, v3
	v_fmac_f32_e32 v8, -0.5, v1
	v_sub_f32_e32 v1, v34, v23
	v_sub_f32_e32 v2, v31, v3
	v_add_f32_e32 v1, v1, v2
	v_mov_b32_e32 v2, v8
	v_fmac_f32_e32 v2, 0x3f737871, v43
	v_fmac_f32_e32 v8, 0xbf737871, v43
	;; [unrolled: 1-line block ×6, first 2 shown]
	v_add_f32_e32 v1, v20, v17
	v_fmac_f32_e32 v11, -0.5, v1
	v_sub_f32_e32 v1, v36, v20
	v_sub_f32_e32 v3, v32, v17
	v_add_f32_e32 v1, v1, v3
	v_mov_b32_e32 v3, v11
	v_fmac_f32_e32 v3, 0xbf737871, v46
	v_fmac_f32_e32 v11, 0x3f737871, v46
	;; [unrolled: 1-line block ×6, first 2 shown]
	v_mul_f32_e32 v7, 0xbf737871, v3
	v_mul_f32_e32 v3, 0x3e9e377a, v3
	;; [unrolled: 1-line block ×4, first 2 shown]
	v_fmac_f32_e32 v44, 0xbf737871, v45
	v_fmac_f32_e32 v7, 0x3e9e377a, v2
	;; [unrolled: 1-line block ×7, first 2 shown]
	v_add_f32_e32 v1, v15, v7
	v_add_f32_e32 v2, v21, v3
	;; [unrolled: 1-line block ×4, first 2 shown]
	v_fmac_f32_e32 v24, 0x3f737871, v47
	v_fmac_f32_e32 v25, 0xbf737871, v51
	;; [unrolled: 1-line block ×4, first 2 shown]
	ds_write2_b64 v13, v[1:2], v[5:6] offset0:10 offset1:15
	v_sub_f32_e32 v1, v14, v54
	v_sub_f32_e32 v8, v21, v3
	v_fmac_f32_e32 v24, 0x3f167918, v49
	v_fmac_f32_e32 v25, 0xbf167918, v53
	v_fmac_f32_e32 v41, 0x3e9e377a, v39
	v_mul_f32_e32 v3, 0xbf167918, v44
	v_mul_f32_e32 v14, 0xbf4f1bbd, v44
	v_fmac_f32_e32 v24, 0x3e9e377a, v27
	v_fmac_f32_e32 v25, 0x3e9e377a, v38
	;; [unrolled: 1-line block ×4, first 2 shown]
	v_sub_f32_e32 v2, v50, v55
	v_sub_f32_e32 v5, v48, v9
	;; [unrolled: 1-line block ×5, first 2 shown]
	v_add_f32_e32 v11, v24, v3
	v_add_f32_e32 v12, v25, v14
	v_sub_f32_e32 v7, v15, v7
	v_sub_f32_e32 v22, v24, v3
	;; [unrolled: 1-line block ×3, first 2 shown]
	ds_write2_b64 v13, v[11:12], v[1:2] offset0:20 offset1:25
	ds_write2_b64 v13, v[5:6], v[7:8] offset0:30 offset1:35
	ds_write2_b64 v13, v[9:10], v[22:23] offset0:40 offset1:45
	v_add_u32_e32 v5, 0x1c00, v30
	s_waitcnt lgkmcnt(0)
	s_barrier
	ds_read2_b64 v[0:3], v0 offset0:14 offset1:194
	ds_read2_b64 v[12:15], v5 offset0:4 offset1:139
	ds_read_b64 v[20:21], v30 offset:9360
	ds_read2_b64 v[8:11], v4 offset0:73 offset1:208
	ds_read2_b64 v[4:7], v30 offset1:135
                                        ; implicit-def: $vgpr25
                                        ; implicit-def: $vgpr27
	s_and_saveexec_b64 s[2:3], vcc
	s_cbranch_execz .LBB0_19
; %bb.18:
	ds_read_b64 v[22:23], v30 offset:3240
	ds_read_b64 v[26:27], v30 offset:6840
	;; [unrolled: 1-line block ×3, first 2 shown]
.LBB0_19:
	s_or_b64 exec, exec, s[2:3]
	v_mov_b32_e32 v29, 41
	v_mul_lo_u16_sdwa v29, v16, v29 dst_sel:DWORD dst_unused:UNUSED_PAD src0_sel:BYTE_0 src1_sel:DWORD
	v_add_u32_e32 v32, 0x87, v16
	v_lshrrev_b16_e32 v51, 11, v29
	v_mul_lo_u16_e32 v29, 50, v51
	v_lshrrev_b16_e32 v33, 1, v32
	v_sub_u16_e32 v52, v16, v29
	v_mov_b32_e32 v29, 4
	v_mul_u32_u24_e32 v33, 0x147b, v33
	v_lshlrev_b32_sdwa v29, v29, v52 dst_sel:DWORD dst_unused:UNUSED_PAD src0_sel:DWORD src1_sel:BYTE_0
	v_lshrrev_b32_e32 v53, 17, v33
	global_load_dwordx4 v[35:38], v29, s[8:9] offset:360
	v_mul_lo_u16_e32 v29, 50, v53
	v_add_u32_e32 v31, 0x10e, v16
	v_sub_u16_e32 v54, v32, v29
	v_lshlrev_b32_e32 v29, 4, v54
	v_lshrrev_b16_e32 v33, 1, v31
	global_load_dwordx4 v[39:42], v29, s[8:9] offset:360
	v_mul_u32_u24_e32 v29, 0x147b, v33
	v_lshrrev_b32_e32 v55, 17, v29
	v_mul_lo_u16_e32 v29, 50, v55
	v_add_u32_e32 v17, 0x195, v16
	v_sub_u16_e32 v56, v31, v29
	v_lshlrev_b32_e32 v29, 4, v56
	v_lshrrev_b16_e32 v34, 1, v17
	global_load_dwordx4 v[43:46], v29, s[8:9] offset:360
	v_mul_u32_u24_e32 v29, 0x147b, v34
	v_lshrrev_b32_e32 v29, 17, v29
	v_mul_lo_u16_e32 v29, 50, v29
	v_sub_u16_e32 v29, v17, v29
	v_lshlrev_b32_e32 v47, 4, v29
	global_load_dwordx4 v[47:50], v47, s[8:9] offset:360
	v_lshlrev_b32_sdwa v28, v28, v52 dst_sel:DWORD dst_unused:UNUSED_PAD src0_sel:DWORD src1_sel:BYTE_0
	s_waitcnt vmcnt(0) lgkmcnt(0)
	s_barrier
	v_mul_f32_e32 v57, v36, v3
	v_mul_f32_e32 v36, v36, v2
	;; [unrolled: 1-line block ×4, first 2 shown]
	v_fmac_f32_e32 v57, v35, v2
	v_fma_f32 v2, v35, v3, -v36
	v_mul_f32_e32 v35, v42, v15
	v_mul_f32_e32 v36, v42, v14
	v_fmac_f32_e32 v58, v37, v12
	v_fma_f32 v3, v37, v13, -v38
	v_mul_f32_e32 v12, v40, v9
	v_mul_f32_e32 v13, v40, v8
	v_fmac_f32_e32 v35, v41, v14
	v_fma_f32 v14, v41, v15, -v36
	v_mul_f32_e32 v15, v44, v10
	v_mul_f32_e32 v37, v44, v11
	v_fmac_f32_e32 v12, v39, v8
	v_fma_f32 v8, v39, v9, -v13
	v_fma_f32 v41, v43, v11, -v15
	v_add_f32_e32 v11, v5, v2
	v_mul_f32_e32 v13, v24, v50
	v_mul_f32_e32 v36, v46, v21
	;; [unrolled: 1-line block ×5, first 2 shown]
	v_fmac_f32_e32 v37, v43, v10
	v_fma_f32 v25, v25, v49, -v13
	v_add_f32_e32 v10, v57, v58
	v_sub_f32_e32 v13, v2, v3
	v_add_f32_e32 v15, v2, v3
	v_add_f32_e32 v3, v11, v3
	;; [unrolled: 1-line block ×3, first 2 shown]
	v_fmac_f32_e32 v36, v45, v20
	v_fma_f32 v20, v45, v21, -v38
	v_fma_f32 v38, v27, v47, -v9
	v_add_f32_e32 v9, v4, v57
	v_fma_f32 v4, -0.5, v10, v4
	v_add_f32_e32 v10, v6, v12
	v_fma_f32 v6, -0.5, v11, v6
	v_mul_f32_e32 v40, v27, v48
	v_fma_f32 v5, -0.5, v15, v5
	v_sub_f32_e32 v15, v8, v14
	v_sub_f32_e32 v27, v12, v35
	v_mov_b32_e32 v12, v6
	v_fmac_f32_e32 v39, v24, v49
	v_add_f32_e32 v24, v7, v8
	v_fmac_f32_e32 v6, 0x3f5db3d7, v15
	v_fmac_f32_e32 v12, 0xbf5db3d7, v15
	v_add_f32_e32 v15, v37, v36
	v_fmac_f32_e32 v40, v26, v47
	v_add_f32_e32 v26, v8, v14
	v_add_f32_e32 v11, v24, v14
	v_add_f32_e32 v14, v0, v37
	v_fma_f32 v0, -0.5, v15, v0
	v_fmac_f32_e32 v7, -0.5, v26
	v_sub_f32_e32 v15, v41, v20
	v_mov_b32_e32 v26, v0
	v_fmac_f32_e32 v26, 0xbf5db3d7, v15
	v_fmac_f32_e32 v0, 0x3f5db3d7, v15
	v_add_f32_e32 v15, v1, v41
	v_mov_b32_e32 v8, v4
	v_add_f32_e32 v15, v15, v20
	v_add_f32_e32 v20, v41, v20
	v_sub_f32_e32 v21, v57, v58
	v_add_f32_e32 v2, v9, v58
	v_fmac_f32_e32 v4, 0x3f5db3d7, v13
	v_mov_b32_e32 v9, v5
	v_fmac_f32_e32 v8, 0xbf5db3d7, v13
	v_mov_b32_e32 v13, v7
	v_fmac_f32_e32 v1, -0.5, v20
	v_fmac_f32_e32 v5, 0xbf5db3d7, v21
	v_fmac_f32_e32 v9, 0x3f5db3d7, v21
	;; [unrolled: 1-line block ×4, first 2 shown]
	v_sub_f32_e32 v20, v37, v36
	v_mov_b32_e32 v27, v1
	v_add_f32_e32 v21, v40, v39
	v_fmac_f32_e32 v27, 0x3f5db3d7, v20
	v_fmac_f32_e32 v1, 0xbf5db3d7, v20
	v_add_f32_e32 v20, v22, v40
	v_fmac_f32_e32 v22, -0.5, v21
	v_sub_f32_e32 v21, v38, v25
	v_mov_b32_e32 v24, v22
	v_fmac_f32_e32 v24, 0xbf5db3d7, v21
	v_fmac_f32_e32 v22, 0x3f5db3d7, v21
	v_add_f32_e32 v21, v23, v38
	v_add_f32_e32 v21, v21, v25
	;; [unrolled: 1-line block ×3, first 2 shown]
	v_fmac_f32_e32 v23, -0.5, v25
	v_add_f32_e32 v10, v10, v35
	v_sub_f32_e32 v35, v40, v39
	v_mov_b32_e32 v25, v23
	v_fmac_f32_e32 v25, 0x3f5db3d7, v35
	v_fmac_f32_e32 v23, 0xbf5db3d7, v35
	v_mul_u32_u24_e32 v35, 0x4b0, v51
	v_add3_u32 v28, 0, v35, v28
	ds_write2_b64 v28, v[2:3], v[8:9] offset1:50
	ds_write_b64 v28, v[4:5] offset:800
	v_mul_u32_u24_e32 v2, 0x4b0, v53
	v_lshlrev_b32_e32 v3, 3, v54
	v_add3_u32 v2, 0, v2, v3
	ds_write2_b64 v2, v[10:11], v[12:13] offset1:50
	ds_write_b64 v2, v[6:7] offset:800
	v_mul_u32_u24_e32 v2, 0x4b0, v55
	v_lshlrev_b32_e32 v3, 3, v56
	v_add_f32_e32 v14, v14, v36
	v_add_f32_e32 v20, v20, v39
	v_add3_u32 v2, 0, v2, v3
	ds_write2_b64 v2, v[14:15], v[26:27] offset1:50
	ds_write_b64 v2, v[0:1] offset:800
	s_and_saveexec_b64 s[2:3], vcc
	s_cbranch_execz .LBB0_21
; %bb.20:
	v_lshl_add_u32 v0, v29, 3, 0
	v_add_u32_e32 v1, 0x2000, v0
	ds_write2_b64 v1, v[20:21], v[24:25] offset0:176 offset1:226
	ds_write_b64 v0, v[22:23] offset:10400
.LBB0_21:
	s_or_b64 exec, exec, s[2:3]
	v_add_u32_e32 v0, 0x800, v30
	v_add_u32_e32 v8, 0x1c00, v30
	;; [unrolled: 1-line block ×3, first 2 shown]
	s_waitcnt lgkmcnt(0)
	s_barrier
	ds_read2_b64 v[4:7], v30 offset1:135
	ds_read2_b64 v[0:3], v0 offset0:14 offset1:194
	ds_read2_b64 v[8:11], v8 offset0:4 offset1:139
	;; [unrolled: 1-line block ×3, first 2 shown]
	ds_read_b64 v[28:29], v30 offset:9360
	s_and_saveexec_b64 s[2:3], vcc
	s_cbranch_execz .LBB0_23
; %bb.22:
	ds_read_b64 v[20:21], v30 offset:3240
	ds_read_b64 v[24:25], v30 offset:6840
	;; [unrolled: 1-line block ×3, first 2 shown]
.LBB0_23:
	s_or_b64 exec, exec, s[2:3]
	v_lshlrev_b32_e32 v47, 1, v16
	v_mov_b32_e32 v48, 0
	v_lshlrev_b64 v[26:27], 3, v[47:48]
	v_mov_b32_e32 v49, s9
	v_add_co_u32_e64 v26, s[2:3], s8, v26
	v_addc_co_u32_e64 v27, s[2:3], v49, v27, s[2:3]
	v_mul_u32_u24_e32 v33, 0xda75, v33
	v_add_u32_e32 v39, -15, v16
	v_cmp_gt_u32_e64 s[2:3], 15, v16
	v_lshrrev_b32_e32 v52, 22, v33
	v_cndmask_b32_e64 v51, v39, v32, s[2:3]
	v_mul_lo_u16_e32 v33, 0x96, v52
	v_lshlrev_b32_e32 v47, 1, v51
	v_sub_u16_e32 v53, v31, v33
	v_mul_u32_u24_e32 v34, 0xda75, v34
	v_lshlrev_b32_e32 v33, 4, v53
	v_lshrrev_b32_e32 v34, 22, v34
	v_lshlrev_b64 v[47:48], 3, v[47:48]
	global_load_dwordx4 v[35:38], v[26:27], off offset:1160
	global_load_dwordx4 v[39:42], v33, s[8:9] offset:1160
	v_mul_lo_u16_e32 v33, 0x96, v34
	v_sub_u16_e32 v33, v17, v33
	v_add_co_u32_e64 v47, s[2:3], s8, v47
	v_lshlrev_b32_e32 v34, 4, v33
	v_addc_co_u32_e64 v48, s[2:3], v49, v48, s[2:3]
	global_load_dwordx4 v[43:46], v34, s[8:9] offset:1160
	v_cmp_lt_u32_e64 s[2:3], 14, v16
	global_load_dwordx4 v[47:50], v[47:48], off offset:1160
	s_waitcnt vmcnt(0) lgkmcnt(0)
	s_barrier
	v_mul_f32_e32 v34, v36, v3
	v_mul_f32_e32 v36, v36, v2
	;; [unrolled: 1-line block ×4, first 2 shown]
	v_fmac_f32_e32 v34, v35, v2
	v_fma_f32 v2, v35, v3, -v36
	v_mul_f32_e32 v35, v40, v15
	v_mul_f32_e32 v36, v42, v29
	v_fmac_f32_e32 v54, v37, v8
	v_fma_f32 v3, v37, v9, -v38
	v_mul_f32_e32 v8, v40, v14
	v_mul_f32_e32 v9, v42, v28
	v_fmac_f32_e32 v36, v41, v28
	v_mul_f32_e32 v28, v48, v13
	v_fmac_f32_e32 v35, v39, v14
	v_mul_f32_e32 v14, v50, v11
	v_mul_f32_e32 v40, v23, v46
	v_fma_f32 v29, v41, v29, -v9
	v_mul_f32_e32 v9, v48, v12
	v_fma_f32 v39, v39, v15, -v8
	v_mul_f32_e32 v8, v50, v10
	v_fmac_f32_e32 v28, v47, v12
	v_fmac_f32_e32 v14, v49, v10
	v_mul_f32_e32 v37, v25, v44
	v_mul_f32_e32 v38, v24, v44
	;; [unrolled: 1-line block ×3, first 2 shown]
	v_fmac_f32_e32 v40, v22, v45
	v_add_f32_e32 v15, v4, v34
	v_add_f32_e32 v22, v34, v54
	v_fma_f32 v12, v47, v13, -v9
	v_fma_f32 v11, v49, v11, -v8
	v_add_f32_e32 v13, v28, v14
	v_fmac_f32_e32 v37, v24, v43
	v_fma_f32 v25, v25, v43, -v38
	v_fma_f32 v38, v23, v45, -v42
	v_sub_f32_e32 v23, v2, v3
	v_add_f32_e32 v24, v5, v2
	v_add_f32_e32 v41, v2, v3
	;; [unrolled: 1-line block ×3, first 2 shown]
	v_fma_f32 v4, -0.5, v22, v4
	v_add_f32_e32 v10, v6, v28
	v_sub_f32_e32 v15, v12, v11
	v_add_f32_e32 v22, v7, v12
	v_add_f32_e32 v12, v12, v11
	v_fma_f32 v6, -0.5, v13, v6
	v_fmac_f32_e32 v7, -0.5, v12
	v_mov_b32_e32 v12, v6
	v_fmac_f32_e32 v6, 0x3f5db3d7, v15
	v_fmac_f32_e32 v12, 0xbf5db3d7, v15
	v_add_f32_e32 v15, v35, v36
	v_add_f32_e32 v3, v24, v3
	v_sub_f32_e32 v24, v28, v14
	v_add_f32_e32 v10, v10, v14
	v_add_f32_e32 v14, v0, v35
	v_fma_f32 v0, -0.5, v15, v0
	v_add_f32_e32 v11, v22, v11
	v_sub_f32_e32 v15, v39, v29
	v_mov_b32_e32 v28, v0
	v_add_f32_e32 v22, v39, v29
	v_fma_f32 v5, -0.5, v41, v5
	v_mov_b32_e32 v8, v4
	v_fmac_f32_e32 v28, 0xbf5db3d7, v15
	v_fmac_f32_e32 v0, 0x3f5db3d7, v15
	v_add_f32_e32 v15, v1, v39
	v_fmac_f32_e32 v1, -0.5, v22
	v_sub_f32_e32 v34, v34, v54
	v_fmac_f32_e32 v4, 0x3f5db3d7, v23
	v_mov_b32_e32 v9, v5
	v_fmac_f32_e32 v8, 0xbf5db3d7, v23
	v_add_f32_e32 v15, v15, v29
	v_sub_f32_e32 v22, v35, v36
	v_mov_b32_e32 v29, v1
	v_add_f32_e32 v23, v37, v40
	v_fmac_f32_e32 v9, 0x3f5db3d7, v34
	v_mov_b32_e32 v13, v7
	v_fmac_f32_e32 v29, 0x3f5db3d7, v22
	v_fmac_f32_e32 v1, 0xbf5db3d7, v22
	v_add_f32_e32 v22, v20, v37
	v_fmac_f32_e32 v20, -0.5, v23
	v_fmac_f32_e32 v5, 0xbf5db3d7, v34
	v_fmac_f32_e32 v13, 0x3f5db3d7, v24
	;; [unrolled: 1-line block ×3, first 2 shown]
	v_sub_f32_e32 v23, v25, v38
	v_mov_b32_e32 v24, v20
	ds_write2_b64 v30, v[2:3], v[8:9] offset1:150
	ds_write_b64 v30, v[4:5] offset:2400
	v_mov_b32_e32 v2, 0xe10
	v_fmac_f32_e32 v24, 0xbf5db3d7, v23
	v_fmac_f32_e32 v20, 0x3f5db3d7, v23
	v_add_f32_e32 v23, v21, v25
	v_add_f32_e32 v25, v25, v38
	v_cndmask_b32_e64 v2, 0, v2, s[2:3]
	v_lshlrev_b32_e32 v3, 3, v51
	v_fmac_f32_e32 v21, -0.5, v25
	v_add3_u32 v2, 0, v2, v3
	v_sub_f32_e32 v34, v37, v40
	v_mov_b32_e32 v25, v21
	ds_write2_b64 v2, v[10:11], v[12:13] offset1:150
	ds_write_b64 v2, v[6:7] offset:2400
	v_mul_u32_u24_e32 v2, 0xe10, v52
	v_lshlrev_b32_e32 v3, 3, v53
	v_add_f32_e32 v14, v14, v36
	v_add_f32_e32 v22, v22, v40
	;; [unrolled: 1-line block ×3, first 2 shown]
	v_fmac_f32_e32 v25, 0x3f5db3d7, v34
	v_fmac_f32_e32 v21, 0xbf5db3d7, v34
	v_add3_u32 v2, 0, v2, v3
	ds_write2_b64 v2, v[14:15], v[28:29] offset1:150
	ds_write_b64 v2, v[0:1] offset:2400
	s_and_saveexec_b64 s[2:3], vcc
	s_cbranch_execz .LBB0_25
; %bb.24:
	v_lshl_add_u32 v0, v33, 3, 0
	v_add_u32_e32 v1, 0x1c00, v0
	ds_write2_b64 v1, v[22:23], v[24:25] offset0:4 offset1:154
	ds_write_b64 v0, v[20:21] offset:9600
.LBB0_25:
	s_or_b64 exec, exec, s[2:3]
	v_add_u32_e32 v33, 0x800, v30
	v_add_u32_e32 v35, 0x1c00, v30
	;; [unrolled: 1-line block ×3, first 2 shown]
	s_waitcnt lgkmcnt(0)
	s_barrier
	ds_read2_b64 v[4:7], v30 offset1:135
	ds_read2_b64 v[0:3], v33 offset0:14 offset1:194
	ds_read2_b64 v[12:15], v35 offset0:4 offset1:139
	;; [unrolled: 1-line block ×3, first 2 shown]
	ds_read_b64 v[28:29], v30 offset:9360
	s_and_saveexec_b64 s[2:3], vcc
	s_cbranch_execz .LBB0_27
; %bb.26:
	ds_read_b64 v[22:23], v30 offset:3240
	ds_read_b64 v[24:25], v30 offset:6840
	;; [unrolled: 1-line block ×3, first 2 shown]
.LBB0_27:
	s_or_b64 exec, exec, s[2:3]
	global_load_dwordx4 v[36:39], v[26:27], off offset:3560
	v_lshlrev_b32_e32 v26, 1, v32
	v_mov_b32_e32 v27, 0
	v_lshlrev_b64 v[40:41], 3, v[26:27]
	v_lshlrev_b32_e32 v26, 1, v31
	v_mov_b32_e32 v44, s9
	v_add_co_u32_e64 v40, s[2:3], s8, v40
	v_lshlrev_b64 v[31:32], 3, v[26:27]
	v_addc_co_u32_e64 v41, s[2:3], v44, v41, s[2:3]
	v_add_co_u32_e64 v31, s[2:3], s8, v31
	global_load_dwordx4 v[40:43], v[40:41], off offset:3560
	v_addc_co_u32_e64 v32, s[2:3], v44, v32, s[2:3]
	global_load_dwordx4 v[44:47], v[31:32], off offset:3560
	s_waitcnt vmcnt(0) lgkmcnt(0)
	s_barrier
	v_mul_f32_e32 v26, v37, v3
	v_mul_f32_e32 v31, v37, v2
	;; [unrolled: 1-line block ×4, first 2 shown]
	v_fmac_f32_e32 v26, v36, v2
	v_fma_f32 v2, v36, v3, -v31
	v_fma_f32 v3, v38, v13, -v37
	v_fmac_f32_e32 v32, v38, v12
	v_add_f32_e32 v12, v4, v26
	v_add_f32_e32 v36, v5, v2
	;; [unrolled: 1-line block ×4, first 2 shown]
	v_sub_f32_e32 v31, v2, v3
	v_sub_f32_e32 v26, v26, v32
	v_add_f32_e32 v2, v12, v32
	v_add_f32_e32 v3, v36, v3
	v_fma_f32 v5, -0.5, v37, v5
	v_mul_f32_e32 v32, v41, v9
	v_mul_f32_e32 v36, v41, v8
	;; [unrolled: 1-line block ×4, first 2 shown]
	v_fma_f32 v4, -0.5, v13, v4
	v_mov_b32_e32 v13, v5
	v_fmac_f32_e32 v32, v40, v8
	v_fma_f32 v8, v40, v9, -v36
	v_fmac_f32_e32 v37, v42, v14
	v_fma_f32 v9, v42, v15, -v38
	v_mul_f32_e32 v14, v45, v11
	v_mul_f32_e32 v15, v45, v10
	;; [unrolled: 1-line block ×4, first 2 shown]
	v_mov_b32_e32 v12, v4
	v_fmac_f32_e32 v5, 0xbf5db3d7, v26
	v_fmac_f32_e32 v13, 0x3f5db3d7, v26
	;; [unrolled: 1-line block ×3, first 2 shown]
	v_fma_f32 v10, v44, v11, -v15
	v_fmac_f32_e32 v36, v46, v28
	v_fma_f32 v15, v46, v29, -v38
	v_add_f32_e32 v26, v32, v37
	v_add_f32_e32 v29, v7, v8
	v_fmac_f32_e32 v4, 0x3f5db3d7, v31
	v_fmac_f32_e32 v12, 0xbf5db3d7, v31
	v_add_f32_e32 v11, v6, v32
	v_sub_f32_e32 v28, v8, v9
	v_add_f32_e32 v31, v8, v9
	v_fma_f32 v6, -0.5, v26, v6
	v_add_f32_e32 v9, v29, v9
	v_add_f32_e32 v29, v14, v36
	;; [unrolled: 1-line block ×3, first 2 shown]
	v_sub_f32_e32 v32, v32, v37
	v_add_f32_e32 v8, v11, v37
	v_fmac_f32_e32 v7, -0.5, v31
	v_add_f32_e32 v26, v0, v14
	v_sub_f32_e32 v31, v10, v15
	v_add_f32_e32 v37, v1, v10
	v_mov_b32_e32 v10, v6
	v_fma_f32 v0, -0.5, v29, v0
	v_fmac_f32_e32 v1, -0.5, v38
	v_sub_f32_e32 v39, v14, v36
	v_fmac_f32_e32 v6, 0x3f5db3d7, v28
	v_mov_b32_e32 v11, v7
	v_fmac_f32_e32 v10, 0xbf5db3d7, v28
	v_mov_b32_e32 v28, v0
	v_mov_b32_e32 v29, v1
	v_fmac_f32_e32 v7, 0xbf5db3d7, v32
	v_add_f32_e32 v14, v26, v36
	v_add_f32_e32 v15, v37, v15
	v_fmac_f32_e32 v11, 0x3f5db3d7, v32
	v_fmac_f32_e32 v0, 0x3f5db3d7, v31
	;; [unrolled: 1-line block ×5, first 2 shown]
	ds_write2_b64 v30, v[2:3], v[8:9] offset1:135
	ds_write2_b64 v35, v[4:5], v[6:7] offset0:4 offset1:139
	ds_write2_b64 v33, v[14:15], v[12:13] offset0:14 offset1:194
	;; [unrolled: 1-line block ×3, first 2 shown]
	ds_write_b64 v30, v[0:1] offset:9360
	s_and_saveexec_b64 s[2:3], vcc
	s_cbranch_execz .LBB0_29
; %bb.28:
	v_subrev_u32_e32 v0, 45, v16
	v_cndmask_b32_e32 v0, v0, v17, vcc
	v_lshlrev_b32_e32 v26, 1, v0
	v_lshlrev_b64 v[0:1], 3, v[26:27]
	v_mov_b32_e32 v2, s9
	v_add_co_u32_e32 v0, vcc, s8, v0
	v_addc_co_u32_e32 v1, vcc, v2, v1, vcc
	global_load_dwordx4 v[0:3], v[0:1], off offset:3560
	s_waitcnt vmcnt(0)
	v_mul_f32_e32 v4, v24, v1
	v_mul_f32_e32 v5, v20, v3
	;; [unrolled: 1-line block ×4, first 2 shown]
	v_fma_f32 v3, v25, v0, -v4
	v_fma_f32 v4, v21, v2, -v5
	v_fmac_f32_e32 v1, v24, v0
	v_fmac_f32_e32 v6, v20, v2
	v_add_f32_e32 v0, v3, v4
	v_add_f32_e32 v5, v1, v6
	v_sub_f32_e32 v7, v1, v6
	v_add_f32_e32 v2, v23, v3
	v_sub_f32_e32 v8, v3, v4
	v_add_f32_e32 v9, v22, v1
	v_fma_f32 v1, -0.5, v0, v23
	v_fma_f32 v0, -0.5, v5, v22
	v_add_f32_e32 v3, v2, v4
	v_add_f32_e32 v2, v9, v6
	v_mov_b32_e32 v5, v1
	v_fmac_f32_e32 v1, 0x3f5db3d7, v7
	v_mov_b32_e32 v4, v0
	v_fmac_f32_e32 v0, 0xbf5db3d7, v8
	ds_write_b64 v30, v[2:3] offset:3240
	v_fmac_f32_e32 v5, 0xbf5db3d7, v7
	v_fmac_f32_e32 v4, 0x3f5db3d7, v8
	ds_write_b64 v30, v[0:1] offset:6840
	ds_write_b64 v30, v[4:5] offset:10440
.LBB0_29:
	s_or_b64 exec, exec, s[2:3]
	s_waitcnt lgkmcnt(0)
	s_barrier
	s_and_saveexec_b64 s[2:3], s[0:1]
	s_cbranch_execz .LBB0_31
; %bb.30:
	v_lshl_add_u32 v6, v16, 3, 0
	v_mov_b32_e32 v17, 0
	ds_read2_b64 v[0:3], v6 offset1:135
	v_mov_b32_e32 v4, s13
	v_add_co_u32_e32 v7, vcc, s12, v18
	v_addc_co_u32_e32 v8, vcc, v4, v19, vcc
	v_lshlrev_b64 v[4:5], 3, v[16:17]
	v_add_co_u32_e32 v4, vcc, v7, v4
	v_addc_co_u32_e32 v5, vcc, v8, v5, vcc
	s_waitcnt lgkmcnt(0)
	global_store_dwordx2 v[4:5], v[0:1], off
	v_add_u32_e32 v0, 0x87, v16
	v_mov_b32_e32 v1, v17
	v_lshlrev_b64 v[0:1], 3, v[0:1]
	v_add_u32_e32 v4, 0x10e, v16
	v_add_co_u32_e32 v0, vcc, v7, v0
	v_addc_co_u32_e32 v1, vcc, v8, v1, vcc
	global_store_dwordx2 v[0:1], v[2:3], off
	v_add_u32_e32 v0, 0x800, v6
	v_mov_b32_e32 v5, v17
	ds_read2_b64 v[0:3], v0 offset0:14 offset1:149
	v_lshlrev_b64 v[4:5], 3, v[4:5]
	v_add_co_u32_e32 v4, vcc, v7, v4
	v_addc_co_u32_e32 v5, vcc, v8, v5, vcc
	s_waitcnt lgkmcnt(0)
	global_store_dwordx2 v[4:5], v[0:1], off
	v_add_u32_e32 v0, 0x195, v16
	v_mov_b32_e32 v1, v17
	v_lshlrev_b64 v[0:1], 3, v[0:1]
	v_add_u32_e32 v4, 0x21c, v16
	v_add_co_u32_e32 v0, vcc, v7, v0
	v_addc_co_u32_e32 v1, vcc, v8, v1, vcc
	global_store_dwordx2 v[0:1], v[2:3], off
	v_add_u32_e32 v0, 0x1000, v6
	v_mov_b32_e32 v5, v17
	ds_read2_b64 v[0:3], v0 offset0:28 offset1:163
	;; [unrolled: 15-line block ×4, first 2 shown]
	v_lshlrev_b64 v[4:5], 3, v[4:5]
	v_add_u32_e32 v16, 0x4bf, v16
	v_add_co_u32_e32 v4, vcc, v7, v4
	v_addc_co_u32_e32 v5, vcc, v8, v5, vcc
	s_waitcnt lgkmcnt(0)
	global_store_dwordx2 v[4:5], v[0:1], off
	v_lshlrev_b64 v[0:1], 3, v[16:17]
	v_add_co_u32_e32 v0, vcc, v7, v0
	v_addc_co_u32_e32 v1, vcc, v8, v1, vcc
	global_store_dwordx2 v[0:1], v[2:3], off
.LBB0_31:
	s_endpgm
	.section	.rodata,"a",@progbits
	.p2align	6, 0x0
	.amdhsa_kernel fft_rtc_back_len1350_factors_5_10_3_3_3_wgs_135_tpt_135_halfLds_sp_ip_CI_unitstride_sbrr_C2R_dirReg
		.amdhsa_group_segment_fixed_size 0
		.amdhsa_private_segment_fixed_size 0
		.amdhsa_kernarg_size 88
		.amdhsa_user_sgpr_count 6
		.amdhsa_user_sgpr_private_segment_buffer 1
		.amdhsa_user_sgpr_dispatch_ptr 0
		.amdhsa_user_sgpr_queue_ptr 0
		.amdhsa_user_sgpr_kernarg_segment_ptr 1
		.amdhsa_user_sgpr_dispatch_id 0
		.amdhsa_user_sgpr_flat_scratch_init 0
		.amdhsa_user_sgpr_private_segment_size 0
		.amdhsa_uses_dynamic_stack 0
		.amdhsa_system_sgpr_private_segment_wavefront_offset 0
		.amdhsa_system_sgpr_workgroup_id_x 1
		.amdhsa_system_sgpr_workgroup_id_y 0
		.amdhsa_system_sgpr_workgroup_id_z 0
		.amdhsa_system_sgpr_workgroup_info 0
		.amdhsa_system_vgpr_workitem_id 0
		.amdhsa_next_free_vgpr 59
		.amdhsa_next_free_sgpr 22
		.amdhsa_reserve_vcc 1
		.amdhsa_reserve_flat_scratch 0
		.amdhsa_float_round_mode_32 0
		.amdhsa_float_round_mode_16_64 0
		.amdhsa_float_denorm_mode_32 3
		.amdhsa_float_denorm_mode_16_64 3
		.amdhsa_dx10_clamp 1
		.amdhsa_ieee_mode 1
		.amdhsa_fp16_overflow 0
		.amdhsa_exception_fp_ieee_invalid_op 0
		.amdhsa_exception_fp_denorm_src 0
		.amdhsa_exception_fp_ieee_div_zero 0
		.amdhsa_exception_fp_ieee_overflow 0
		.amdhsa_exception_fp_ieee_underflow 0
		.amdhsa_exception_fp_ieee_inexact 0
		.amdhsa_exception_int_div_zero 0
	.end_amdhsa_kernel
	.text
.Lfunc_end0:
	.size	fft_rtc_back_len1350_factors_5_10_3_3_3_wgs_135_tpt_135_halfLds_sp_ip_CI_unitstride_sbrr_C2R_dirReg, .Lfunc_end0-fft_rtc_back_len1350_factors_5_10_3_3_3_wgs_135_tpt_135_halfLds_sp_ip_CI_unitstride_sbrr_C2R_dirReg
                                        ; -- End function
	.section	.AMDGPU.csdata,"",@progbits
; Kernel info:
; codeLenInByte = 7548
; NumSgprs: 26
; NumVgprs: 59
; ScratchSize: 0
; MemoryBound: 0
; FloatMode: 240
; IeeeMode: 1
; LDSByteSize: 0 bytes/workgroup (compile time only)
; SGPRBlocks: 3
; VGPRBlocks: 14
; NumSGPRsForWavesPerEU: 26
; NumVGPRsForWavesPerEU: 59
; Occupancy: 4
; WaveLimiterHint : 1
; COMPUTE_PGM_RSRC2:SCRATCH_EN: 0
; COMPUTE_PGM_RSRC2:USER_SGPR: 6
; COMPUTE_PGM_RSRC2:TRAP_HANDLER: 0
; COMPUTE_PGM_RSRC2:TGID_X_EN: 1
; COMPUTE_PGM_RSRC2:TGID_Y_EN: 0
; COMPUTE_PGM_RSRC2:TGID_Z_EN: 0
; COMPUTE_PGM_RSRC2:TIDIG_COMP_CNT: 0
	.type	__hip_cuid_dc868cc82591f809,@object ; @__hip_cuid_dc868cc82591f809
	.section	.bss,"aw",@nobits
	.globl	__hip_cuid_dc868cc82591f809
__hip_cuid_dc868cc82591f809:
	.byte	0                               ; 0x0
	.size	__hip_cuid_dc868cc82591f809, 1

	.ident	"AMD clang version 19.0.0git (https://github.com/RadeonOpenCompute/llvm-project roc-6.4.0 25133 c7fe45cf4b819c5991fe208aaa96edf142730f1d)"
	.section	".note.GNU-stack","",@progbits
	.addrsig
	.addrsig_sym __hip_cuid_dc868cc82591f809
	.amdgpu_metadata
---
amdhsa.kernels:
  - .args:
      - .actual_access:  read_only
        .address_space:  global
        .offset:         0
        .size:           8
        .value_kind:     global_buffer
      - .offset:         8
        .size:           8
        .value_kind:     by_value
      - .actual_access:  read_only
        .address_space:  global
        .offset:         16
        .size:           8
        .value_kind:     global_buffer
      - .actual_access:  read_only
        .address_space:  global
        .offset:         24
        .size:           8
        .value_kind:     global_buffer
      - .offset:         32
        .size:           8
        .value_kind:     by_value
      - .actual_access:  read_only
        .address_space:  global
        .offset:         40
        .size:           8
        .value_kind:     global_buffer
      - .actual_access:  read_only
        .address_space:  global
        .offset:         48
        .size:           8
        .value_kind:     global_buffer
      - .offset:         56
        .size:           4
        .value_kind:     by_value
      - .actual_access:  read_only
        .address_space:  global
        .offset:         64
        .size:           8
        .value_kind:     global_buffer
      - .actual_access:  read_only
        .address_space:  global
        .offset:         72
        .size:           8
        .value_kind:     global_buffer
      - .address_space:  global
        .offset:         80
        .size:           8
        .value_kind:     global_buffer
    .group_segment_fixed_size: 0
    .kernarg_segment_align: 8
    .kernarg_segment_size: 88
    .language:       OpenCL C
    .language_version:
      - 2
      - 0
    .max_flat_workgroup_size: 135
    .name:           fft_rtc_back_len1350_factors_5_10_3_3_3_wgs_135_tpt_135_halfLds_sp_ip_CI_unitstride_sbrr_C2R_dirReg
    .private_segment_fixed_size: 0
    .sgpr_count:     26
    .sgpr_spill_count: 0
    .symbol:         fft_rtc_back_len1350_factors_5_10_3_3_3_wgs_135_tpt_135_halfLds_sp_ip_CI_unitstride_sbrr_C2R_dirReg.kd
    .uniform_work_group_size: 1
    .uses_dynamic_stack: false
    .vgpr_count:     59
    .vgpr_spill_count: 0
    .wavefront_size: 64
amdhsa.target:   amdgcn-amd-amdhsa--gfx906
amdhsa.version:
  - 1
  - 2
...

	.end_amdgpu_metadata
